;; amdgpu-corpus repo=ROCm/rocFFT kind=compiled arch=gfx906 opt=O3
	.text
	.amdgcn_target "amdgcn-amd-amdhsa--gfx906"
	.amdhsa_code_object_version 6
	.protected	fft_rtc_fwd_len693_factors_11_7_9_wgs_99_tpt_99_halfLds_dp_ip_CI_unitstride_sbrr_dirReg ; -- Begin function fft_rtc_fwd_len693_factors_11_7_9_wgs_99_tpt_99_halfLds_dp_ip_CI_unitstride_sbrr_dirReg
	.globl	fft_rtc_fwd_len693_factors_11_7_9_wgs_99_tpt_99_halfLds_dp_ip_CI_unitstride_sbrr_dirReg
	.p2align	8
	.type	fft_rtc_fwd_len693_factors_11_7_9_wgs_99_tpt_99_halfLds_dp_ip_CI_unitstride_sbrr_dirReg,@function
fft_rtc_fwd_len693_factors_11_7_9_wgs_99_tpt_99_halfLds_dp_ip_CI_unitstride_sbrr_dirReg: ; @fft_rtc_fwd_len693_factors_11_7_9_wgs_99_tpt_99_halfLds_dp_ip_CI_unitstride_sbrr_dirReg
; %bb.0:
	s_load_dwordx2 s[12:13], s[4:5], 0x50
	s_load_dwordx4 s[8:11], s[4:5], 0x0
	s_load_dwordx2 s[2:3], s[4:5], 0x18
	v_mul_u32_u24_e32 v1, 0x296, v0
	v_add_u32_sdwa v5, s6, v1 dst_sel:DWORD dst_unused:UNUSED_PAD src0_sel:DWORD src1_sel:WORD_1
	v_mov_b32_e32 v3, 0
	s_waitcnt lgkmcnt(0)
	v_cmp_lt_u64_e64 s[0:1], s[10:11], 2
	v_mov_b32_e32 v1, 0
	v_mov_b32_e32 v6, v3
	s_and_b64 vcc, exec, s[0:1]
	v_mov_b32_e32 v2, 0
	s_cbranch_vccnz .LBB0_8
; %bb.1:
	s_load_dwordx2 s[0:1], s[4:5], 0x10
	s_add_u32 s6, s2, 8
	s_addc_u32 s7, s3, 0
	v_mov_b32_e32 v1, 0
	v_mov_b32_e32 v2, 0
	s_waitcnt lgkmcnt(0)
	s_add_u32 s14, s0, 8
	s_addc_u32 s15, s1, 0
	s_mov_b64 s[16:17], 1
.LBB0_2:                                ; =>This Inner Loop Header: Depth=1
	s_load_dwordx2 s[18:19], s[14:15], 0x0
                                        ; implicit-def: $vgpr7_vgpr8
	s_waitcnt lgkmcnt(0)
	v_or_b32_e32 v4, s19, v6
	v_cmp_ne_u64_e32 vcc, 0, v[3:4]
	s_and_saveexec_b64 s[0:1], vcc
	s_xor_b64 s[20:21], exec, s[0:1]
	s_cbranch_execz .LBB0_4
; %bb.3:                                ;   in Loop: Header=BB0_2 Depth=1
	v_cvt_f32_u32_e32 v4, s18
	v_cvt_f32_u32_e32 v7, s19
	s_sub_u32 s0, 0, s18
	s_subb_u32 s1, 0, s19
	v_mac_f32_e32 v4, 0x4f800000, v7
	v_rcp_f32_e32 v4, v4
	v_mul_f32_e32 v4, 0x5f7ffffc, v4
	v_mul_f32_e32 v7, 0x2f800000, v4
	v_trunc_f32_e32 v7, v7
	v_mac_f32_e32 v4, 0xcf800000, v7
	v_cvt_u32_f32_e32 v7, v7
	v_cvt_u32_f32_e32 v4, v4
	v_mul_lo_u32 v8, s0, v7
	v_mul_hi_u32 v9, s0, v4
	v_mul_lo_u32 v11, s1, v4
	v_mul_lo_u32 v10, s0, v4
	v_add_u32_e32 v8, v9, v8
	v_add_u32_e32 v8, v8, v11
	v_mul_hi_u32 v9, v4, v10
	v_mul_lo_u32 v11, v4, v8
	v_mul_hi_u32 v13, v4, v8
	v_mul_hi_u32 v12, v7, v10
	v_mul_lo_u32 v10, v7, v10
	v_mul_hi_u32 v14, v7, v8
	v_add_co_u32_e32 v9, vcc, v9, v11
	v_addc_co_u32_e32 v11, vcc, 0, v13, vcc
	v_mul_lo_u32 v8, v7, v8
	v_add_co_u32_e32 v9, vcc, v9, v10
	v_addc_co_u32_e32 v9, vcc, v11, v12, vcc
	v_addc_co_u32_e32 v10, vcc, 0, v14, vcc
	v_add_co_u32_e32 v8, vcc, v9, v8
	v_addc_co_u32_e32 v9, vcc, 0, v10, vcc
	v_add_co_u32_e32 v4, vcc, v4, v8
	v_addc_co_u32_e32 v7, vcc, v7, v9, vcc
	v_mul_lo_u32 v8, s0, v7
	v_mul_hi_u32 v9, s0, v4
	v_mul_lo_u32 v10, s1, v4
	v_mul_lo_u32 v11, s0, v4
	v_add_u32_e32 v8, v9, v8
	v_add_u32_e32 v8, v8, v10
	v_mul_lo_u32 v12, v4, v8
	v_mul_hi_u32 v13, v4, v11
	v_mul_hi_u32 v14, v4, v8
	;; [unrolled: 1-line block ×3, first 2 shown]
	v_mul_lo_u32 v11, v7, v11
	v_mul_hi_u32 v9, v7, v8
	v_add_co_u32_e32 v12, vcc, v13, v12
	v_addc_co_u32_e32 v13, vcc, 0, v14, vcc
	v_mul_lo_u32 v8, v7, v8
	v_add_co_u32_e32 v11, vcc, v12, v11
	v_addc_co_u32_e32 v10, vcc, v13, v10, vcc
	v_addc_co_u32_e32 v9, vcc, 0, v9, vcc
	v_add_co_u32_e32 v8, vcc, v10, v8
	v_addc_co_u32_e32 v9, vcc, 0, v9, vcc
	v_add_co_u32_e32 v4, vcc, v4, v8
	v_addc_co_u32_e32 v9, vcc, v7, v9, vcc
	v_mad_u64_u32 v[7:8], s[0:1], v5, v9, 0
	v_mul_hi_u32 v10, v5, v4
	v_add_co_u32_e32 v11, vcc, v10, v7
	v_addc_co_u32_e32 v12, vcc, 0, v8, vcc
	v_mad_u64_u32 v[7:8], s[0:1], v6, v4, 0
	v_mad_u64_u32 v[9:10], s[0:1], v6, v9, 0
	v_add_co_u32_e32 v4, vcc, v11, v7
	v_addc_co_u32_e32 v4, vcc, v12, v8, vcc
	v_addc_co_u32_e32 v7, vcc, 0, v10, vcc
	v_add_co_u32_e32 v4, vcc, v4, v9
	v_addc_co_u32_e32 v9, vcc, 0, v7, vcc
	v_mul_lo_u32 v10, s19, v4
	v_mul_lo_u32 v11, s18, v9
	v_mad_u64_u32 v[7:8], s[0:1], s18, v4, 0
	v_add3_u32 v8, v8, v11, v10
	v_sub_u32_e32 v10, v6, v8
	v_mov_b32_e32 v11, s19
	v_sub_co_u32_e32 v7, vcc, v5, v7
	v_subb_co_u32_e64 v10, s[0:1], v10, v11, vcc
	v_subrev_co_u32_e64 v11, s[0:1], s18, v7
	v_subbrev_co_u32_e64 v10, s[0:1], 0, v10, s[0:1]
	v_cmp_le_u32_e64 s[0:1], s19, v10
	v_cndmask_b32_e64 v12, 0, -1, s[0:1]
	v_cmp_le_u32_e64 s[0:1], s18, v11
	v_cndmask_b32_e64 v11, 0, -1, s[0:1]
	v_cmp_eq_u32_e64 s[0:1], s19, v10
	v_cndmask_b32_e64 v10, v12, v11, s[0:1]
	v_add_co_u32_e64 v11, s[0:1], 2, v4
	v_addc_co_u32_e64 v12, s[0:1], 0, v9, s[0:1]
	v_add_co_u32_e64 v13, s[0:1], 1, v4
	v_addc_co_u32_e64 v14, s[0:1], 0, v9, s[0:1]
	v_subb_co_u32_e32 v8, vcc, v6, v8, vcc
	v_cmp_ne_u32_e64 s[0:1], 0, v10
	v_cmp_le_u32_e32 vcc, s19, v8
	v_cndmask_b32_e64 v10, v14, v12, s[0:1]
	v_cndmask_b32_e64 v12, 0, -1, vcc
	v_cmp_le_u32_e32 vcc, s18, v7
	v_cndmask_b32_e64 v7, 0, -1, vcc
	v_cmp_eq_u32_e32 vcc, s19, v8
	v_cndmask_b32_e32 v7, v12, v7, vcc
	v_cmp_ne_u32_e32 vcc, 0, v7
	v_cndmask_b32_e64 v7, v13, v11, s[0:1]
	v_cndmask_b32_e32 v8, v9, v10, vcc
	v_cndmask_b32_e32 v7, v4, v7, vcc
.LBB0_4:                                ;   in Loop: Header=BB0_2 Depth=1
	s_andn2_saveexec_b64 s[0:1], s[20:21]
	s_cbranch_execz .LBB0_6
; %bb.5:                                ;   in Loop: Header=BB0_2 Depth=1
	v_cvt_f32_u32_e32 v4, s18
	s_sub_i32 s20, 0, s18
	v_rcp_iflag_f32_e32 v4, v4
	v_mul_f32_e32 v4, 0x4f7ffffe, v4
	v_cvt_u32_f32_e32 v4, v4
	v_mul_lo_u32 v7, s20, v4
	v_mul_hi_u32 v7, v4, v7
	v_add_u32_e32 v4, v4, v7
	v_mul_hi_u32 v4, v5, v4
	v_mul_lo_u32 v7, v4, s18
	v_add_u32_e32 v8, 1, v4
	v_sub_u32_e32 v7, v5, v7
	v_subrev_u32_e32 v9, s18, v7
	v_cmp_le_u32_e32 vcc, s18, v7
	v_cndmask_b32_e32 v7, v7, v9, vcc
	v_cndmask_b32_e32 v4, v4, v8, vcc
	v_add_u32_e32 v8, 1, v4
	v_cmp_le_u32_e32 vcc, s18, v7
	v_cndmask_b32_e32 v7, v4, v8, vcc
	v_mov_b32_e32 v8, v3
.LBB0_6:                                ;   in Loop: Header=BB0_2 Depth=1
	s_or_b64 exec, exec, s[0:1]
	v_mul_lo_u32 v4, v8, s18
	v_mul_lo_u32 v11, v7, s19
	v_mad_u64_u32 v[9:10], s[0:1], v7, s18, 0
	s_load_dwordx2 s[0:1], s[6:7], 0x0
	s_add_u32 s16, s16, 1
	v_add3_u32 v4, v10, v11, v4
	v_sub_co_u32_e32 v5, vcc, v5, v9
	v_subb_co_u32_e32 v4, vcc, v6, v4, vcc
	s_waitcnt lgkmcnt(0)
	v_mul_lo_u32 v4, s0, v4
	v_mul_lo_u32 v6, s1, v5
	v_mad_u64_u32 v[1:2], s[0:1], s0, v5, v[1:2]
	s_addc_u32 s17, s17, 0
	s_add_u32 s6, s6, 8
	v_add3_u32 v2, v6, v2, v4
	v_mov_b32_e32 v4, s10
	v_mov_b32_e32 v5, s11
	s_addc_u32 s7, s7, 0
	v_cmp_ge_u64_e32 vcc, s[16:17], v[4:5]
	s_add_u32 s14, s14, 8
	s_addc_u32 s15, s15, 0
	s_cbranch_vccnz .LBB0_9
; %bb.7:                                ;   in Loop: Header=BB0_2 Depth=1
	v_mov_b32_e32 v5, v7
	v_mov_b32_e32 v6, v8
	s_branch .LBB0_2
.LBB0_8:
	v_mov_b32_e32 v8, v6
	v_mov_b32_e32 v7, v5
.LBB0_9:
	s_lshl_b64 s[0:1], s[10:11], 3
	s_add_u32 s0, s2, s0
	s_addc_u32 s1, s3, s1
	s_load_dwordx2 s[2:3], s[0:1], 0x0
	s_load_dwordx2 s[6:7], s[4:5], 0x20
                                        ; implicit-def: $vgpr16_vgpr17
                                        ; implicit-def: $vgpr12_vgpr13
                                        ; implicit-def: $vgpr20_vgpr21
                                        ; implicit-def: $vgpr24_vgpr25
                                        ; implicit-def: $vgpr28_vgpr29
                                        ; implicit-def: $vgpr32_vgpr33
                                        ; implicit-def: $vgpr48_vgpr49
                                        ; implicit-def: $vgpr36_vgpr37
                                        ; implicit-def: $vgpr44_vgpr45
                                        ; implicit-def: $vgpr40_vgpr41
	s_waitcnt lgkmcnt(0)
	v_mad_u64_u32 v[1:2], s[0:1], s2, v7, v[1:2]
	s_mov_b32 s0, 0x295fad5
	v_mul_lo_u32 v3, s2, v8
	v_mul_lo_u32 v4, s3, v7
	v_mul_hi_u32 v5, v0, s0
	v_cmp_gt_u64_e32 vcc, s[6:7], v[7:8]
                                        ; implicit-def: $vgpr8_vgpr9
	v_add3_u32 v2, v4, v2, v3
	v_mul_u32_u24_e32 v3, 0x63, v5
	v_sub_u32_e32 v62, v0, v3
	v_cmp_gt_u32_e64 s[0:1], 63, v62
	v_lshlrev_b64 v[64:65], 4, v[1:2]
	s_and_b64 s[2:3], vcc, s[0:1]
	s_and_saveexec_b64 s[4:5], s[2:3]
	s_cbranch_execz .LBB0_11
; %bb.10:
	v_mov_b32_e32 v63, 0
	v_mov_b32_e32 v0, s13
	v_add_co_u32_e64 v2, s[2:3], s12, v64
	v_addc_co_u32_e64 v3, s[2:3], v0, v65, s[2:3]
	v_lshlrev_b64 v[0:1], 4, v[62:63]
	v_add_co_u32_e64 v0, s[2:3], v2, v0
	v_addc_co_u32_e64 v1, s[2:3], v3, v1, s[2:3]
	s_movk_i32 s2, 0x1000
	v_add_co_u32_e64 v2, s[2:3], s2, v0
	v_addc_co_u32_e64 v3, s[2:3], 0, v1, s[2:3]
	s_movk_i32 s2, 0x2000
	v_add_co_u32_e64 v4, s[2:3], s2, v0
	global_load_dwordx4 v[6:9], v[0:1], off
	global_load_dwordx4 v[38:41], v[0:1], off offset:1008
	global_load_dwordx4 v[42:45], v[0:1], off offset:2016
	;; [unrolled: 1-line block ×3, first 2 shown]
	v_addc_co_u32_e64 v5, s[2:3], 0, v1, s[2:3]
	global_load_dwordx4 v[46:49], v[0:1], off offset:4032
	global_load_dwordx4 v[30:33], v[2:3], off offset:944
	;; [unrolled: 1-line block ×7, first 2 shown]
.LBB0_11:
	s_or_b64 exec, exec, s[4:5]
	s_waitcnt vmcnt(0)
	v_add_f64 v[0:1], v[14:15], v[38:39]
	s_mov_b32 s2, 0x640f44db
	s_mov_b32 s3, 0xbfc2375f
	v_add_f64 v[4:5], v[40:41], -v[16:17]
	v_add_f64 v[50:51], v[10:11], v[42:43]
	s_mov_b32 s18, 0x43842ef
	s_mov_b32 s4, 0x7f775887
	;; [unrolled: 1-line block ×3, first 2 shown]
	v_mul_f64 v[74:75], v[0:1], s[2:3]
	s_mov_b32 s19, 0xbfefac9e
	s_mov_b32 s5, 0xbfe4f49e
	;; [unrolled: 1-line block ×3, first 2 shown]
	v_add_f64 v[52:53], v[44:45], -v[12:13]
	v_mul_f64 v[86:87], v[0:1], s[4:5]
	v_mul_f64 v[80:81], v[50:51], s[6:7]
	s_mov_b32 s16, 0xbb3a28a1
	v_fma_f64 v[2:3], v[4:5], s[18:19], v[74:75]
	s_mov_b32 s20, 0xfd768dbf
	s_mov_b32 s17, 0xbfe82f19
	;; [unrolled: 1-line block ×3, first 2 shown]
	v_mul_f64 v[88:89], v[50:51], s[2:3]
	v_fma_f64 v[56:57], v[4:5], s[16:17], v[86:87]
	v_fma_f64 v[58:59], v[52:53], s[20:21], v[80:81]
	v_add_f64 v[54:55], v[18:19], v[34:35]
	v_add_f64 v[2:3], v[6:7], v[2:3]
	s_mov_b32 s10, 0xd9c712b6
	s_mov_b32 s14, 0x8764f0ba
	;; [unrolled: 1-line block ×6, first 2 shown]
	v_fma_f64 v[60:61], v[52:53], s[22:23], v[88:89]
	v_add_f64 v[66:67], v[6:7], v[56:57]
	v_add_f64 v[56:57], v[36:37], -v[20:21]
	v_add_f64 v[2:3], v[58:59], v[2:3]
	v_mul_f64 v[70:71], v[54:55], s[10:11]
	v_mul_f64 v[90:91], v[54:55], s[14:15]
	v_add_f64 v[58:59], v[22:23], v[46:47]
	s_mov_b32 s24, 0x8eee2c13
	s_mov_b32 s26, 0xf8bb580b
	;; [unrolled: 1-line block ×4, first 2 shown]
	v_add_f64 v[66:67], v[60:61], v[66:67]
	v_fma_f64 v[72:73], v[56:57], s[24:25], v[70:71]
	v_fma_f64 v[78:79], v[56:57], s[26:27], v[90:91]
	v_add_f64 v[68:69], v[48:49], -v[24:25]
	v_mul_f64 v[76:77], v[58:59], s[14:15]
	v_mul_f64 v[82:83], v[58:59], s[6:7]
	v_add_f64 v[60:61], v[26:27], v[30:31]
	s_mov_b32 s29, 0xbfd207e7
	s_mov_b32 s28, s20
	v_add_f64 v[2:3], v[72:73], v[2:3]
	v_add_f64 v[66:67], v[78:79], v[66:67]
	v_add_f64 v[72:73], v[32:33], -v[28:29]
	v_fma_f64 v[92:93], v[68:69], s[26:27], v[76:77]
	v_fma_f64 v[94:95], v[68:69], s[28:29], v[82:83]
	v_mul_f64 v[78:79], v[60:61], s[4:5]
	v_mul_f64 v[84:85], v[60:61], s[10:11]
	v_add_f64 v[2:3], v[92:93], v[2:3]
	v_add_f64 v[92:93], v[94:95], v[66:67]
	v_fma_f64 v[66:67], v[72:73], s[16:17], v[78:79]
	v_fma_f64 v[94:95], v[72:73], s[24:25], v[84:85]
	v_add_f64 v[66:67], v[66:67], v[2:3]
	v_add_f64 v[2:3], v[94:95], v[92:93]
	s_and_saveexec_b64 s[30:31], s[0:1]
	s_cbranch_execz .LBB0_13
; %bb.12:
	v_mul_f64 v[92:93], v[4:5], s[28:29]
	s_mov_b32 s35, 0x3fe14ced
	s_mov_b32 s34, s26
	v_mul_f64 v[102:103], v[52:53], s[34:35]
	v_mul_f64 v[96:97], v[4:5], s[16:17]
	;; [unrolled: 1-line block ×5, first 2 shown]
	v_fma_f64 v[104:105], v[0:1], s[6:7], v[92:93]
	v_mul_f64 v[98:99], v[52:53], s[20:21]
	v_mul_f64 v[106:107], v[56:57], s[24:25]
	v_fma_f64 v[116:117], v[50:51], s[14:15], v[102:103]
	v_add_f64 v[86:87], v[86:87], -v[96:97]
	v_mul_f64 v[96:97], v[68:69], s[24:25]
	v_fma_f64 v[122:123], v[54:55], s[4:5], v[114:115]
	v_add_f64 v[88:89], v[88:89], -v[100:101]
	v_add_f64 v[104:105], v[6:7], v[104:105]
	v_add_f64 v[74:75], v[74:75], -v[94:95]
	v_mul_f64 v[108:109], v[56:57], s[26:27]
	v_add_f64 v[80:81], v[80:81], -v[98:99]
	v_add_f64 v[86:87], v[6:7], v[86:87]
	v_fma_f64 v[100:101], v[58:59], s[10:11], v[96:97]
	v_fma_f64 v[92:93], v[0:1], s[6:7], -v[92:93]
	v_mul_f64 v[110:111], v[68:69], s[26:27]
	v_add_f64 v[104:105], v[116:117], v[104:105]
	v_add_f64 v[74:75], v[6:7], v[74:75]
	v_mul_f64 v[112:113], v[68:69], s[28:29]
	v_add_f64 v[90:91], v[90:91], -v[108:109]
	v_add_f64 v[86:87], v[88:89], v[86:87]
	v_add_f64 v[70:71], v[70:71], -v[106:107]
	s_mov_b32 s37, 0xbfed1bb4
	s_mov_b32 s36, s24
	v_add_f64 v[94:95], v[122:123], v[104:105]
	v_add_f64 v[74:75], v[80:81], v[74:75]
	v_fma_f64 v[102:103], v[50:51], s[14:15], -v[102:103]
	v_add_f64 v[92:93], v[6:7], v[92:93]
	v_add_f64 v[82:83], v[82:83], -v[112:113]
	v_add_f64 v[86:87], v[90:91], v[86:87]
	v_mul_f64 v[90:91], v[4:5], s[36:37]
	v_add_f64 v[76:77], v[76:77], -v[110:111]
	v_add_f64 v[88:89], v[100:101], v[94:95]
	v_add_f64 v[94:95], v[38:39], v[6:7]
	;; [unrolled: 1-line block ×3, first 2 shown]
	v_fma_f64 v[114:115], v[54:55], s[4:5], -v[114:115]
	v_add_f64 v[92:93], v[102:103], v[92:93]
	v_add_f64 v[74:75], v[82:83], v[86:87]
	v_mul_f64 v[82:83], v[52:53], s[16:17]
	v_fma_f64 v[86:87], v[0:1], s[10:11], v[90:91]
	v_mul_f64 v[4:5], v[4:5], s[26:27]
	v_add_f64 v[80:81], v[42:43], v[94:95]
	v_add_f64 v[70:71], v[76:77], v[70:71]
	v_fma_f64 v[96:97], v[58:59], s[10:11], -v[96:97]
	v_add_f64 v[92:93], v[114:115], v[92:93]
	v_mul_f64 v[52:53], v[52:53], s[36:37]
	v_fma_f64 v[90:91], v[0:1], s[10:11], -v[90:91]
	v_add_f64 v[86:87], v[6:7], v[86:87]
	v_fma_f64 v[106:107], v[0:1], s[14:15], -v[4:5]
	v_add_f64 v[80:81], v[34:35], v[80:81]
	v_fma_f64 v[0:1], v[0:1], s[14:15], v[4:5]
	v_mul_f64 v[116:117], v[72:73], s[18:19]
	v_add_f64 v[92:93], v[96:97], v[92:93]
	v_mul_f64 v[96:97], v[56:57], s[20:21]
	v_mul_f64 v[56:57], v[56:57], s[18:19]
	v_fma_f64 v[4:5], v[50:51], s[10:11], -v[52:53]
	v_add_f64 v[90:91], v[6:7], v[90:91]
	v_add_f64 v[76:77], v[46:47], v[80:81]
	v_fma_f64 v[80:81], v[50:51], s[4:5], v[82:83]
	v_fma_f64 v[82:83], v[50:51], s[4:5], -v[82:83]
	v_fma_f64 v[50:51], v[50:51], s[10:11], v[52:53]
	v_add_f64 v[0:1], v[6:7], v[0:1]
	v_fma_f64 v[98:99], v[60:61], s[2:3], -v[116:117]
	v_mul_f64 v[94:95], v[68:69], s[22:23]
	v_mul_f64 v[68:69], v[68:69], s[16:17]
	v_add_f64 v[76:77], v[30:31], v[76:77]
	v_add_f64 v[80:81], v[80:81], v[86:87]
	;; [unrolled: 1-line block ×3, first 2 shown]
	v_fma_f64 v[6:7], v[54:55], s[2:3], -v[56:57]
	v_fma_f64 v[104:105], v[54:55], s[6:7], v[96:97]
	v_fma_f64 v[96:97], v[54:55], s[6:7], -v[96:97]
	v_fma_f64 v[54:55], v[54:55], s[2:3], v[56:57]
	v_add_f64 v[0:1], v[50:51], v[0:1]
	v_add_f64 v[76:77], v[26:27], v[76:77]
	v_mul_f64 v[118:119], v[72:73], s[16:17]
	v_add_f64 v[4:5], v[4:5], v[86:87]
	v_mul_f64 v[120:121], v[72:73], s[24:25]
	;; [unrolled: 2-line block ×3, first 2 shown]
	v_mul_f64 v[72:73], v[72:73], s[28:29]
	v_fma_f64 v[50:51], v[58:59], s[4:5], -v[68:69]
	v_add_f64 v[52:53], v[22:23], v[76:77]
	v_add_f64 v[76:77], v[82:83], v[90:91]
	;; [unrolled: 1-line block ×3, first 2 shown]
	v_fma_f64 v[82:83], v[58:59], s[2:3], -v[94:95]
	v_fma_f64 v[100:101], v[58:59], s[2:3], v[94:95]
	v_add_f64 v[56:57], v[104:105], v[80:81]
	v_fma_f64 v[58:59], v[58:59], s[4:5], v[68:69]
	v_add_f64 v[0:1], v[54:55], v[0:1]
	v_add_f64 v[6:7], v[18:19], v[52:53]
	v_add_f64 v[52:53], v[96:97], v[76:77]
	v_fma_f64 v[54:55], v[60:61], s[6:7], -v[72:73]
	v_add_f64 v[4:5], v[50:51], v[4:5]
	v_add_f64 v[78:79], v[78:79], -v[118:119]
	v_fma_f64 v[76:77], v[60:61], s[14:15], -v[98:99]
	v_add_f64 v[84:85], v[84:85], -v[120:121]
	v_fma_f64 v[102:103], v[60:61], s[2:3], v[116:117]
	v_add_f64 v[6:7], v[10:11], v[6:7]
	v_add_f64 v[50:51], v[82:83], v[52:53]
	v_fma_f64 v[52:53], v[60:61], s[14:15], v[98:99]
	v_add_f64 v[56:57], v[100:101], v[56:57]
	v_fma_f64 v[60:61], v[60:61], s[6:7], v[72:73]
	v_add_f64 v[0:1], v[58:59], v[0:1]
	v_add_f64 v[4:5], v[54:55], v[4:5]
	v_add_f64 v[58:59], v[78:79], v[70:71]
	v_add_f64 v[6:7], v[14:15], v[6:7]
	v_add_f64 v[50:51], v[76:77], v[50:51]
	v_add_f64 v[54:55], v[84:85], v[74:75]
	v_add_f64 v[68:69], v[102:103], v[88:89]
	v_add_f64 v[52:53], v[52:53], v[56:57]
	v_add_f64 v[0:1], v[60:61], v[0:1]
	s_movk_i32 s33, 0x58
	v_mad_u32_u24 v56, v62, s33, 0
	ds_write2_b64 v56, v[6:7], v[4:5] offset1:1
	ds_write2_b64 v56, v[50:51], v[58:59] offset0:2 offset1:3
	ds_write2_b64 v56, v[54:55], v[92:93] offset0:4 offset1:5
	;; [unrolled: 1-line block ×4, first 2 shown]
	ds_write_b64 v56, v[0:1] offset:80
.LBB0_13:
	s_or_b64 exec, exec, s[30:31]
	v_add_f64 v[78:79], v[38:39], -v[14:15]
	v_add_f64 v[80:81], v[42:43], -v[10:11]
	v_add_f64 v[76:77], v[16:17], v[40:41]
	v_add_f64 v[68:69], v[34:35], -v[18:19]
	v_add_f64 v[72:73], v[12:13], v[44:45]
	v_add_f64 v[42:43], v[20:21], v[36:37]
	v_add_f64 v[38:39], v[46:47], -v[22:23]
	v_add_f64 v[22:23], v[24:25], v[48:49]
	v_mul_f64 v[82:83], v[78:79], s[18:19]
	v_mul_f64 v[84:85], v[78:79], s[16:17]
	;; [unrolled: 1-line block ×6, first 2 shown]
	v_add_f64 v[10:11], v[30:31], -v[26:27]
	v_mul_f64 v[30:31], v[38:39], s[26:27]
	v_fma_f64 v[0:1], v[76:77], s[2:3], -v[82:83]
	v_fma_f64 v[4:5], v[76:77], s[4:5], -v[84:85]
	;; [unrolled: 1-line block ×4, first 2 shown]
	v_mul_f64 v[26:27], v[38:39], s[28:29]
	v_fma_f64 v[34:35], v[42:43], s[10:11], -v[46:47]
	v_fma_f64 v[50:51], v[42:43], s[14:15], -v[70:71]
	v_mul_f64 v[18:19], v[10:11], s[24:25]
	v_add_f64 v[0:1], v[8:9], v[0:1]
	v_add_f64 v[4:5], v[8:9], v[4:5]
	v_fma_f64 v[52:53], v[22:23], s[14:15], -v[30:31]
	v_lshl_add_u32 v63, v62, 3, 0
	v_fma_f64 v[54:55], v[22:23], s[6:7], -v[26:27]
	v_add_u32_e32 v88, 0x400, v63
	v_add_u32_e32 v89, 0x800, v63
	s_waitcnt lgkmcnt(0)
	v_add_f64 v[0:1], v[6:7], v[0:1]
	v_add_f64 v[6:7], v[14:15], v[4:5]
	;; [unrolled: 1-line block ×3, first 2 shown]
	v_mul_f64 v[14:15], v[10:11], s[16:17]
	s_barrier
	ds_read2_b64 v[58:61], v88 offset0:70 offset1:169
	v_add_f64 v[0:1], v[34:35], v[0:1]
	v_add_f64 v[6:7], v[50:51], v[6:7]
	v_fma_f64 v[56:57], v[4:5], s[10:11], -v[18:19]
	v_fma_f64 v[34:35], v[4:5], s[4:5], -v[14:15]
	v_add_f64 v[0:1], v[52:53], v[0:1]
	v_add_f64 v[6:7], v[54:55], v[6:7]
	ds_read2_b64 v[50:53], v63 offset1:99
	v_add_f64 v[34:35], v[34:35], v[0:1]
	v_add_f64 v[6:7], v[56:57], v[6:7]
	ds_read2_b64 v[54:57], v89 offset0:140 offset1:239
	ds_read_b64 v[0:1], v63 offset:4752
	s_waitcnt lgkmcnt(0)
	s_barrier
	s_and_saveexec_b64 s[16:17], s[0:1]
	s_cbranch_execz .LBB0_15
; %bb.14:
	v_add_f64 v[40:41], v[40:41], v[8:9]
	v_mul_f64 v[90:91], v[76:77], s[2:3]
	v_mul_f64 v[96:97], v[72:73], s[2:3]
	s_mov_b32 s3, 0xbfe14ced
	s_mov_b32 s2, 0xf8bb580b
	v_mul_f64 v[98:99], v[42:43], s[10:11]
	v_mul_f64 v[106:107], v[4:5], s[10:11]
	s_mov_b32 s11, 0xbfed1bb4
	v_add_f64 v[40:41], v[44:45], v[40:41]
	s_mov_b32 s10, 0x8eee2c13
	v_mul_f64 v[44:45], v[42:43], s[14:15]
	v_mul_f64 v[100:101], v[22:23], s[14:15]
	s_mov_b32 s0, 0x8764f0ba
	s_mov_b32 s14, 0xfd768dbf
	v_mul_f64 v[94:95], v[72:73], s[6:7]
	v_mul_f64 v[102:103], v[22:23], s[6:7]
	v_add_f64 v[36:37], v[36:37], v[40:41]
	v_mul_f64 v[40:41], v[78:79], s[10:11]
	s_mov_b32 s1, 0x3feaeb8c
	s_mov_b32 s6, 0xd9c712b6
	;; [unrolled: 1-line block ×4, first 2 shown]
	v_mul_f64 v[92:93], v[76:77], s[4:5]
	s_mov_b32 s7, 0x3fda9628
	v_add_f64 v[36:37], v[48:49], v[36:37]
	s_mov_b32 s23, 0xbfe82f19
	v_mul_f64 v[48:49], v[78:79], s[14:15]
	v_add_f64 v[82:83], v[90:91], v[82:83]
	v_mul_f64 v[108:109], v[80:81], s[22:23]
	v_mul_f64 v[104:105], v[4:5], s[4:5]
	s_mov_b32 s4, 0x9bcd5057
	s_mov_b32 s5, 0xbfeeb42a
	v_add_f64 v[32:33], v[32:33], v[36:37]
	v_mul_f64 v[36:37], v[78:79], s[2:3]
	v_mul_f64 v[78:79], v[80:81], s[10:11]
	s_mov_b32 s20, 0x7f775887
	s_mov_b32 s21, 0xbfe4f49e
	;; [unrolled: 1-line block ×3, first 2 shown]
	v_add_f64 v[84:85], v[92:93], v[84:85]
	v_fma_f64 v[92:93], v[76:77], s[4:5], v[48:49]
	v_add_f64 v[28:29], v[28:29], v[32:33]
	v_fma_f64 v[90:91], v[76:77], s[0:1], v[36:37]
	v_mul_f64 v[32:33], v[68:69], s[18:19]
	v_fma_f64 v[48:49], v[76:77], s[4:5], -v[48:49]
	v_mul_f64 v[80:81], v[80:81], s[2:3]
	v_add_f64 v[86:87], v[94:95], v[86:87]
	v_fma_f64 v[94:95], v[72:73], s[20:21], -v[108:109]
	s_mov_b32 s25, 0x3fd207e7
	v_add_f64 v[24:25], v[24:25], v[28:29]
	v_fma_f64 v[28:29], v[76:77], s[0:1], -v[36:37]
	v_fma_f64 v[36:37], v[76:77], s[6:7], v[40:41]
	v_fma_f64 v[40:41], v[76:77], s[6:7], -v[40:41]
	v_fma_f64 v[76:77], v[72:73], s[6:7], v[78:79]
	v_fma_f64 v[78:79], v[72:73], s[6:7], -v[78:79]
	v_add_f64 v[90:91], v[8:9], v[90:91]
	s_mov_b32 s24, s14
	v_add_f64 v[20:21], v[20:21], v[24:25]
	v_add_f64 v[28:29], v[8:9], v[28:29]
	v_fma_f64 v[24:25], v[72:73], s[20:21], v[108:109]
	v_add_f64 v[36:37], v[8:9], v[36:37]
	v_add_f64 v[40:41], v[8:9], v[40:41]
	;; [unrolled: 1-line block ×4, first 2 shown]
	s_mov_b32 s11, 0x3fed1bb4
	v_add_f64 v[12:13], v[12:13], v[20:21]
	v_add_f64 v[20:21], v[8:9], v[84:85]
	;; [unrolled: 1-line block ×9, first 2 shown]
	v_mul_f64 v[16:17], v[68:69], s[24:25]
	s_mov_b32 s24, 0x640f44db
	s_mov_b32 s25, 0xbfc2375f
	v_fma_f64 v[76:77], v[42:43], s[24:25], v[32:33]
	v_fma_f64 v[32:33], v[42:43], s[24:25], -v[32:33]
	v_add_f64 v[40:41], v[96:97], v[74:75]
	v_fma_f64 v[74:75], v[72:73], s[0:1], v[80:81]
	v_fma_f64 v[72:73], v[72:73], s[0:1], -v[80:81]
	v_mul_f64 v[68:69], v[68:69], s[22:23]
	v_fma_f64 v[78:79], v[42:43], s[4:5], v[16:17]
	v_fma_f64 v[16:17], v[42:43], s[4:5], -v[16:17]
	v_add_f64 v[48:49], v[76:77], v[48:49]
	v_add_f64 v[28:29], v[32:33], v[28:29]
	;; [unrolled: 1-line block ×3, first 2 shown]
	v_mul_f64 v[46:47], v[38:39], s[22:23]
	s_mov_b32 s23, 0x3fefac9e
	s_mov_b32 s22, s18
	v_add_f64 v[20:21], v[40:41], v[20:21]
	v_add_f64 v[8:9], v[72:73], v[8:9]
	v_mul_f64 v[72:73], v[38:39], s[22:23]
	v_add_f64 v[24:25], v[78:79], v[24:25]
	v_fma_f64 v[70:71], v[42:43], s[20:21], v[68:69]
	v_add_f64 v[16:17], v[16:17], v[36:37]
	v_fma_f64 v[36:37], v[42:43], s[20:21], -v[68:69]
	v_fma_f64 v[42:43], v[22:23], s[20:21], v[46:47]
	v_add_f64 v[20:21], v[44:45], v[20:21]
	v_mul_f64 v[38:39], v[38:39], s[10:11]
	v_fma_f64 v[44:45], v[22:23], s[24:25], v[72:73]
	v_add_f64 v[80:81], v[86:87], v[82:83]
	v_fma_f64 v[46:47], v[22:23], s[20:21], -v[46:47]
	v_add_f64 v[40:41], v[74:75], v[84:85]
	v_add_f64 v[8:9], v[36:37], v[8:9]
	;; [unrolled: 1-line block ×3, first 2 shown]
	v_fma_f64 v[42:43], v[22:23], s[24:25], -v[72:73]
	v_add_f64 v[30:31], v[100:101], v[30:31]
	v_add_f64 v[24:25], v[44:45], v[24:25]
	v_fma_f64 v[44:45], v[22:23], s[6:7], v[38:39]
	v_fma_f64 v[22:23], v[22:23], s[6:7], -v[38:39]
	v_mul_f64 v[38:39], v[10:11], s[14:15]
	v_add_f64 v[32:33], v[32:33], v[80:81]
	v_add_f64 v[28:29], v[46:47], v[28:29]
	v_mul_f64 v[46:47], v[10:11], s[2:3]
	v_add_f64 v[40:41], v[70:71], v[40:41]
	v_add_f64 v[26:27], v[102:103], v[26:27]
	v_mul_f64 v[10:11], v[10:11], s[18:19]
	v_add_f64 v[8:9], v[22:23], v[8:9]
	v_fma_f64 v[22:23], v[4:5], s[4:5], v[38:39]
	v_add_f64 v[30:31], v[30:31], v[32:33]
	v_add_f64 v[14:15], v[104:105], v[14:15]
	v_fma_f64 v[32:33], v[4:5], s[0:1], v[46:47]
	v_add_f64 v[18:19], v[106:107], v[18:19]
	v_add_f64 v[20:21], v[26:27], v[20:21]
	v_add_f64 v[26:27], v[44:45], v[40:41]
	v_fma_f64 v[40:41], v[4:5], s[24:25], v[10:11]
	v_fma_f64 v[10:11], v[4:5], s[24:25], -v[10:11]
	v_add_f64 v[16:17], v[42:43], v[16:17]
	v_fma_f64 v[42:43], v[4:5], s[0:1], -v[46:47]
	v_fma_f64 v[4:5], v[4:5], s[4:5], -v[38:39]
	v_add_f64 v[22:23], v[22:23], v[36:37]
	v_add_f64 v[24:25], v[32:33], v[24:25]
	v_add_f64 v[14:15], v[14:15], v[30:31]
	v_add_f64 v[18:19], v[18:19], v[20:21]
	v_add_f64 v[20:21], v[40:41], v[26:27]
	v_add_f64 v[8:9], v[10:11], v[8:9]
	v_add_f64 v[10:11], v[42:43], v[16:17]
	v_add_f64 v[4:5], v[4:5], v[28:29]
	s_movk_i32 s0, 0x50
	v_mad_u32_u24 v16, v62, s0, v63
	ds_write2_b64 v16, v[12:13], v[22:23] offset1:1
	ds_write2_b64 v16, v[24:25], v[14:15] offset0:2 offset1:3
	ds_write2_b64 v16, v[18:19], v[20:21] offset0:4 offset1:5
	;; [unrolled: 1-line block ×4, first 2 shown]
	ds_write_b64 v16, v[4:5] offset:80
.LBB0_15:
	s_or_b64 exec, exec, s[16:17]
	s_movk_i32 s0, 0x75
	v_mul_lo_u16_sdwa v4, v62, s0 dst_sel:DWORD dst_unused:UNUSED_PAD src0_sel:BYTE_0 src1_sel:DWORD
	v_sub_u16_sdwa v5, v62, v4 dst_sel:DWORD dst_unused:UNUSED_PAD src0_sel:DWORD src1_sel:BYTE_1
	v_lshrrev_b16_e32 v5, 1, v5
	v_and_b32_e32 v5, 0x7f, v5
	v_add_u16_sdwa v4, v5, v4 dst_sel:DWORD dst_unused:UNUSED_PAD src0_sel:DWORD src1_sel:BYTE_1
	v_lshrrev_b16_e32 v80, 3, v4
	v_mul_lo_u16_e32 v4, 11, v80
	v_sub_u16_e32 v81, v62, v4
	v_mov_b32_e32 v4, 6
	v_mul_u32_u24_sdwa v4, v81, v4 dst_sel:DWORD dst_unused:UNUSED_PAD src0_sel:BYTE_0 src1_sel:DWORD
	v_lshlrev_b32_e32 v4, 4, v4
	s_waitcnt lgkmcnt(0)
	s_barrier
	global_load_dwordx4 v[8:11], v4, s[8:9]
	global_load_dwordx4 v[16:19], v4, s[8:9] offset:16
	global_load_dwordx4 v[20:23], v4, s[8:9] offset:32
	;; [unrolled: 1-line block ×5, first 2 shown]
	ds_read2_b64 v[12:15], v63 offset1:99
	ds_read2_b64 v[36:39], v88 offset0:70 offset1:169
	ds_read2_b64 v[72:75], v89 offset0:140 offset1:239
	ds_read_b64 v[48:49], v63 offset:4752
	s_mov_b32 s4, 0x37e14327
	s_mov_b32 s2, 0x36b3c0b5
	;; [unrolled: 1-line block ×20, first 2 shown]
	s_movk_i32 s0, 0x4d
	v_cmp_gt_u32_e64 s[0:1], s0, v62
	s_waitcnt vmcnt(0) lgkmcnt(0)
	s_barrier
	v_mul_f64 v[4:5], v[14:15], v[10:11]
	v_mul_f64 v[10:11], v[52:53], v[10:11]
	;; [unrolled: 1-line block ×12, first 2 shown]
	v_fma_f64 v[4:5], v[52:53], v[8:9], -v[4:5]
	v_fma_f64 v[26:27], v[14:15], v[8:9], v[10:11]
	v_fma_f64 v[24:25], v[58:59], v[16:17], -v[24:25]
	v_fma_f64 v[14:15], v[0:1], v[44:45], -v[32:33]
	v_fma_f64 v[32:33], v[56:57], v[68:69], -v[42:43]
	v_fma_f64 v[28:29], v[36:37], v[16:17], v[18:19]
	v_fma_f64 v[30:31], v[60:61], v[20:21], -v[30:31]
	v_fma_f64 v[36:37], v[38:39], v[20:21], v[22:23]
	v_fma_f64 v[42:43], v[74:75], v[68:69], v[70:71]
	v_fma_f64 v[38:39], v[54:55], v[40:41], -v[76:77]
	v_fma_f64 v[40:41], v[72:73], v[40:41], v[78:79]
	v_fma_f64 v[44:45], v[48:49], v[44:45], v[46:47]
	v_add_f64 v[0:1], v[4:5], v[14:15]
	v_add_f64 v[10:11], v[24:25], v[32:33]
	v_add_f64 v[8:9], v[28:29], -v[42:43]
	v_add_f64 v[16:17], v[30:31], v[38:39]
	v_add_f64 v[18:19], v[40:41], -v[36:37]
	v_add_f64 v[20:21], v[26:27], -v[44:45]
	v_add_f64 v[22:23], v[10:11], v[0:1]
	v_add_f64 v[46:47], v[0:1], -v[16:17]
	v_add_f64 v[48:49], v[18:19], -v[8:9]
	v_add_f64 v[52:53], v[8:9], -v[20:21]
	v_add_f64 v[54:55], v[18:19], v[8:9]
	v_add_f64 v[22:23], v[16:17], v[22:23]
	v_add_f64 v[16:17], v[16:17], -v[10:11]
	v_add_f64 v[18:19], v[20:21], -v[18:19]
	;; [unrolled: 1-line block ×3, first 2 shown]
	v_mul_f64 v[46:47], v[46:47], s[4:5]
	v_mul_f64 v[48:49], v[48:49], s[14:15]
	;; [unrolled: 1-line block ×3, first 2 shown]
	v_add_f64 v[20:21], v[54:55], v[20:21]
	v_add_f64 v[8:9], v[50:51], v[22:23]
	v_mul_f64 v[10:11], v[16:17], s[2:3]
	v_fma_f64 v[16:17], v[16:17], s[2:3], v[46:47]
	v_fma_f64 v[50:51], v[18:19], s[20:21], v[48:49]
	v_fma_f64 v[48:49], v[52:53], s[6:7], -v[48:49]
	v_fma_f64 v[18:19], v[18:19], s[22:23], -v[56:57]
	v_fma_f64 v[22:23], v[22:23], s[10:11], v[8:9]
	v_fma_f64 v[46:47], v[0:1], s[18:19], -v[46:47]
	v_fma_f64 v[0:1], v[0:1], s[16:17], -v[10:11]
	v_mov_b32_e32 v10, 3
	v_lshlrev_b32_sdwa v57, v10, v81 dst_sel:DWORD dst_unused:UNUSED_PAD src0_sel:DWORD src1_sel:BYTE_0
	v_fma_f64 v[50:51], v[20:21], s[24:25], v[50:51]
	v_fma_f64 v[48:49], v[20:21], s[24:25], v[48:49]
	;; [unrolled: 1-line block ×3, first 2 shown]
	v_add_f64 v[54:55], v[16:17], v[22:23]
	v_add_f64 v[46:47], v[46:47], v[22:23]
	;; [unrolled: 1-line block ×3, first 2 shown]
	v_mul_u32_u24_e32 v56, 0x268, v80
	v_add_f64 v[10:11], v[50:51], v[54:55]
	v_add_f64 v[16:17], v[52:53], v[46:47]
	v_add_f64 v[18:19], v[0:1], -v[48:49]
	v_add_f64 v[20:21], v[48:49], v[0:1]
	v_add_f64 v[22:23], v[46:47], -v[52:53]
	v_add_f64 v[0:1], v[54:55], -v[50:51]
	v_add3_u32 v46, 0, v56, v57
	ds_write2_b64 v46, v[8:9], v[10:11] offset1:11
	ds_write2_b64 v46, v[16:17], v[18:19] offset0:22 offset1:33
	ds_write2_b64 v46, v[20:21], v[22:23] offset0:44 offset1:55
	ds_write_b64 v46, v[0:1] offset:528
	s_waitcnt lgkmcnt(0)
	s_barrier
	s_and_saveexec_b64 s[26:27], s[0:1]
	s_cbranch_execz .LBB0_17
; %bb.16:
	v_add_u32_e32 v0, 0x800, v63
	ds_read2_b64 v[8:11], v63 offset1:77
	ds_read2_b64 v[16:19], v63 offset0:154 offset1:231
	ds_read2_b64 v[20:23], v0 offset0:52 offset1:129
	v_add_u32_e32 v0, 0xc00, v63
	ds_read2_b64 v[0:3], v0 offset0:78 offset1:155
	ds_read_b64 v[66:67], v63 offset:4928
.LBB0_17:
	s_or_b64 exec, exec, s[26:27]
	v_add_f64 v[26:27], v[26:27], v[44:45]
	v_add_f64 v[28:29], v[28:29], v[42:43]
	v_add_f64 v[24:25], v[24:25], -v[32:33]
	v_add_f64 v[32:33], v[36:37], v[40:41]
	v_add_f64 v[30:31], v[38:39], -v[30:31]
	v_add_f64 v[4:5], v[4:5], -v[14:15]
	s_waitcnt lgkmcnt(0)
	s_barrier
	v_add_f64 v[14:15], v[28:29], v[26:27]
	v_add_f64 v[36:37], v[26:27], -v[32:33]
	v_add_f64 v[38:39], v[30:31], -v[24:25]
	;; [unrolled: 1-line block ×3, first 2 shown]
	v_add_f64 v[24:25], v[30:31], v[24:25]
	v_add_f64 v[30:31], v[4:5], -v[30:31]
	v_add_f64 v[26:27], v[28:29], -v[26:27]
	v_add_f64 v[14:15], v[32:33], v[14:15]
	v_add_f64 v[32:33], v[32:33], -v[28:29]
	v_mul_f64 v[36:37], v[36:37], s[4:5]
	v_mul_f64 v[38:39], v[38:39], s[14:15]
	;; [unrolled: 1-line block ×3, first 2 shown]
	v_add_f64 v[4:5], v[24:25], v[4:5]
	v_add_f64 v[12:13], v[12:13], v[14:15]
	v_mul_f64 v[28:29], v[32:33], s[2:3]
	v_fma_f64 v[24:25], v[32:33], s[2:3], v[36:37]
	v_fma_f64 v[32:33], v[30:31], s[20:21], v[38:39]
	v_fma_f64 v[38:39], v[40:41], s[6:7], -v[38:39]
	v_fma_f64 v[30:31], v[30:31], s[22:23], -v[42:43]
	;; [unrolled: 1-line block ×3, first 2 shown]
	v_fma_f64 v[14:15], v[14:15], s[10:11], v[12:13]
	v_fma_f64 v[26:27], v[26:27], s[16:17], -v[28:29]
	v_fma_f64 v[32:33], v[4:5], s[24:25], v[32:33]
	v_fma_f64 v[28:29], v[4:5], s[24:25], v[38:39]
	;; [unrolled: 1-line block ×3, first 2 shown]
	v_add_f64 v[38:39], v[24:25], v[14:15]
	v_add_f64 v[30:31], v[36:37], v[14:15]
	;; [unrolled: 1-line block ×3, first 2 shown]
	v_add_f64 v[14:15], v[38:39], -v[32:33]
	v_add_f64 v[24:25], v[30:31], -v[4:5]
	v_add_f64 v[26:27], v[28:29], v[36:37]
	v_add_f64 v[28:29], v[36:37], -v[28:29]
	v_add_f64 v[30:31], v[4:5], v[30:31]
	v_add_f64 v[4:5], v[32:33], v[38:39]
	ds_write2_b64 v46, v[12:13], v[14:15] offset1:11
	ds_write2_b64 v46, v[24:25], v[26:27] offset0:22 offset1:33
	ds_write2_b64 v46, v[28:29], v[30:31] offset0:44 offset1:55
	ds_write_b64 v46, v[4:5] offset:528
	s_waitcnt lgkmcnt(0)
	s_barrier
	s_and_saveexec_b64 s[2:3], s[0:1]
	s_cbranch_execnz .LBB0_20
; %bb.18:
	s_or_b64 exec, exec, s[2:3]
	s_and_b64 s[0:1], vcc, s[0:1]
	s_and_saveexec_b64 s[2:3], s[0:1]
	s_cbranch_execnz .LBB0_21
.LBB0_19:
	s_endpgm
.LBB0_20:
	v_add_u32_e32 v4, 0x800, v63
	ds_read2_b64 v[12:15], v63 offset1:77
	ds_read2_b64 v[24:27], v63 offset0:154 offset1:231
	ds_read2_b64 v[28:31], v4 offset0:52 offset1:129
	v_add_u32_e32 v4, 0xc00, v63
	ds_read2_b64 v[4:7], v4 offset0:78 offset1:155
	ds_read_b64 v[34:35], v63 offset:4928
	s_or_b64 exec, exec, s[2:3]
	s_and_b64 s[0:1], vcc, s[0:1]
	s_and_saveexec_b64 s[2:3], s[0:1]
	s_cbranch_execz .LBB0_19
.LBB0_21:
	v_lshlrev_b32_e32 v59, 3, v62
	v_mov_b32_e32 v60, 0
	v_lshlrev_b64 v[32:33], 4, v[59:60]
	v_mov_b32_e32 v36, s9
	v_add_co_u32_e32 v32, vcc, s8, v32
	v_addc_co_u32_e32 v33, vcc, v36, v33, vcc
	global_load_dwordx4 v[36:39], v[32:33], off offset:1088
	global_load_dwordx4 v[40:43], v[32:33], off offset:1136
	;; [unrolled: 1-line block ×8, first 2 shown]
	s_mov_b32 s2, 0x8c811c17
	s_mov_b32 s14, 0xa2cf5039
	;; [unrolled: 1-line block ×16, first 2 shown]
	v_mov_b32_e32 v63, v60
	s_waitcnt vmcnt(7) lgkmcnt(3)
	v_mul_f64 v[32:33], v[26:27], v[38:39]
	v_mul_f64 v[38:39], v[18:19], v[38:39]
	s_waitcnt vmcnt(5)
	v_mul_f64 v[78:79], v[24:25], v[46:47]
	s_waitcnt vmcnt(4) lgkmcnt(1)
	v_mul_f64 v[80:81], v[6:7], v[50:51]
	s_waitcnt vmcnt(3)
	v_mul_f64 v[82:83], v[28:29], v[54:55]
	s_waitcnt vmcnt(2)
	v_mul_f64 v[84:85], v[30:31], v[58:59]
	v_mul_f64 v[54:55], v[20:21], v[54:55]
	;; [unrolled: 1-line block ×5, first 2 shown]
	s_waitcnt vmcnt(1)
	v_mul_f64 v[86:87], v[14:15], v[70:71]
	s_waitcnt vmcnt(0) lgkmcnt(0)
	v_mul_f64 v[88:89], v[34:35], v[74:75]
	v_mul_f64 v[70:71], v[10:11], v[70:71]
	;; [unrolled: 1-line block ×3, first 2 shown]
	v_fma_f64 v[16:17], v[16:17], v[44:45], -v[78:79]
	v_fma_f64 v[2:3], v[2:3], v[48:49], -v[80:81]
	v_fma_f64 v[28:29], v[28:29], v[52:53], v[54:55]
	v_fma_f64 v[30:31], v[30:31], v[56:57], v[58:59]
	;; [unrolled: 1-line block ×4, first 2 shown]
	v_mul_f64 v[76:77], v[4:5], v[42:43]
	v_mul_f64 v[42:43], v[0:1], v[42:43]
	v_fma_f64 v[20:21], v[20:21], v[52:53], -v[82:83]
	v_fma_f64 v[22:23], v[22:23], v[56:57], -v[84:85]
	;; [unrolled: 1-line block ×5, first 2 shown]
	v_fma_f64 v[26:27], v[26:27], v[36:37], v[38:39]
	v_fma_f64 v[14:15], v[14:15], v[68:69], v[70:71]
	;; [unrolled: 1-line block ×3, first 2 shown]
	v_add_f64 v[38:39], v[16:17], -v[2:3]
	v_add_f64 v[46:47], v[24:25], v[6:7]
	v_add_f64 v[6:7], v[24:25], -v[6:7]
	v_add_f64 v[24:25], v[28:29], -v[30:31]
	v_add_f64 v[16:17], v[16:17], v[2:3]
	v_fma_f64 v[0:1], v[0:1], v[40:41], -v[76:77]
	v_fma_f64 v[4:5], v[4:5], v[40:41], v[42:43]
	v_add_f64 v[40:41], v[20:21], -v[22:23]
	v_add_f64 v[42:43], v[10:11], -v[32:33]
	v_add_f64 v[50:51], v[14:15], v[34:35]
	v_add_f64 v[2:3], v[14:15], -v[34:35]
	v_add_f64 v[10:11], v[10:11], v[32:33]
	v_add_f64 v[14:15], v[20:21], v[22:23]
	v_mul_f64 v[32:33], v[24:25], s[2:3]
	v_fma_f64 v[34:35], v[16:17], s[14:15], v[8:9]
	v_add_f64 v[44:45], v[28:29], v[30:31]
	v_add_f64 v[36:37], v[18:19], -v[0:1]
	v_add_f64 v[48:49], v[26:27], v[4:5]
	v_add_f64 v[4:5], v[26:27], -v[4:5]
	v_add_f64 v[0:1], v[18:19], v[0:1]
	v_mul_f64 v[18:19], v[40:41], s[2:3]
	v_fma_f64 v[26:27], v[46:47], s[14:15], v[12:13]
	v_add_f64 v[52:53], v[46:47], v[50:51]
	v_add_f64 v[54:55], v[16:17], v[10:11]
	v_mul_f64 v[70:71], v[40:41], s[6:7]
	v_mul_f64 v[74:75], v[24:25], s[6:7]
	v_fma_f64 v[32:33], v[6:7], s[6:7], -v[32:33]
	v_fma_f64 v[34:35], v[14:15], s[10:11], v[34:35]
	v_fma_f64 v[72:73], v[44:45], s[14:15], v[12:13]
	;; [unrolled: 1-line block ×3, first 2 shown]
	v_fma_f64 v[18:19], v[38:39], s[6:7], -v[18:19]
	v_fma_f64 v[26:27], v[44:45], s[10:11], v[26:27]
	s_mov_b32 s7, 0x3fe491b7
	v_add_f64 v[58:59], v[12:13], v[48:49]
	v_fma_f64 v[78:79], v[50:51], s[14:15], v[12:13]
	v_fma_f64 v[80:81], v[10:11], s[14:15], v[8:9]
	v_add_f64 v[82:83], v[48:49], v[52:53]
	v_add_f64 v[84:85], v[0:1], v[54:55]
	;; [unrolled: 1-line block ×3, first 2 shown]
	v_fma_f64 v[70:71], v[42:43], s[2:3], v[70:71]
	v_fma_f64 v[74:75], v[2:3], s[2:3], v[74:75]
	v_mul_f64 v[86:87], v[42:43], s[6:7]
	v_mul_f64 v[88:89], v[2:3], s[6:7]
	v_fma_f64 v[32:33], v[4:5], s[0:1], v[32:33]
	v_fma_f64 v[34:35], v[0:1], -0.5, v[34:35]
	v_add_f64 v[68:69], v[8:9], v[0:1]
	v_add_f64 v[54:55], v[14:15], v[54:55]
	v_fma_f64 v[72:73], v[50:51], s[10:11], v[72:73]
	v_fma_f64 v[76:77], v[10:11], s[10:11], v[76:77]
	;; [unrolled: 1-line block ×3, first 2 shown]
	v_fma_f64 v[26:27], v[48:49], -0.5, v[26:27]
	v_fma_f64 v[78:79], v[46:47], s[10:11], v[78:79]
	v_fma_f64 v[80:81], v[16:17], s[10:11], v[80:81]
	v_add_f64 v[28:29], v[28:29], v[82:83]
	v_add_f64 v[20:21], v[20:21], v[84:85]
	v_fma_f64 v[52:53], v[52:53], -0.5, v[58:59]
	v_fma_f64 v[58:59], v[36:37], s[16:17], v[70:71]
	v_fma_f64 v[70:71], v[4:5], s[16:17], v[74:75]
	;; [unrolled: 1-line block ×6, first 2 shown]
	v_add_f64 v[56:57], v[40:41], v[42:43]
	v_fma_f64 v[54:55], v[54:55], -0.5, v[68:69]
	v_fma_f64 v[68:69], v[48:49], -0.5, v[72:73]
	v_add_f64 v[66:67], v[24:25], v[2:3]
	v_fma_f64 v[72:73], v[0:1], -0.5, v[76:77]
	v_fma_f64 v[18:19], v[42:43], s[4:5], v[18:19]
	v_fma_f64 v[26:27], v[50:51], s[8:9], v[26:27]
	v_fma_f64 v[48:49], v[48:49], -0.5, v[78:79]
	v_fma_f64 v[42:43], v[0:1], -0.5, v[80:81]
	v_add_f64 v[28:29], v[30:31], v[28:29]
	v_add_f64 v[30:31], v[22:23], v[20:21]
	v_fma_f64 v[20:21], v[36:37], s[0:1], v[74:75]
	v_add_f64 v[0:1], v[32:33], v[10:11]
	v_fma_f64 v[10:11], v[4:5], s[0:1], v[34:35]
	v_add_f64 v[56:57], v[56:57], -v[38:39]
	v_fma_f64 v[38:39], v[38:39], s[4:5], v[58:59]
	v_fma_f64 v[22:23], v[46:47], s[8:9], v[68:69]
	v_add_f64 v[66:67], v[66:67], -v[6:7]
	v_add_f64 v[2:3], v[26:27], -v[18:19]
	v_fma_f64 v[34:35], v[6:7], s[4:5], v[70:71]
	v_fma_f64 v[26:27], v[16:17], s[8:9], v[72:73]
	;; [unrolled: 1-line block ×6, first 2 shown]
	v_fma_f64 v[4:5], v[32:33], -2.0, v[0:1]
	v_mul_f64 v[32:33], v[56:57], s[0:1]
	v_fma_f64 v[16:17], v[56:57], s[16:17], v[52:53]
	v_add_f64 v[20:21], v[22:23], -v[38:39]
	v_fma_f64 v[6:7], v[18:19], 2.0, v[2:3]
	v_mul_f64 v[42:43], v[66:67], s[0:1]
	v_fma_f64 v[14:15], v[66:67], s[0:1], v[54:55]
	v_add_f64 v[18:19], v[34:35], v[26:27]
	v_add_f64 v[24:25], v[36:37], -v[40:41]
	v_add_f64 v[22:23], v[44:45], v[10:11]
	v_add_f64 v[10:11], v[12:13], v[28:29]
	v_add_f64 v[8:9], v[8:9], v[30:31]
	v_fma_f64 v[28:29], v[32:33], 2.0, v[16:17]
	v_fma_f64 v[32:33], v[38:39], 2.0, v[20:21]
	v_mov_b32_e32 v12, s13
	v_add_co_u32_e32 v38, vcc, s12, v64
	v_fma_f64 v[26:27], v[42:43], -2.0, v[14:15]
	v_fma_f64 v[30:31], v[34:35], -2.0, v[18:19]
	v_addc_co_u32_e32 v39, vcc, v12, v65, vcc
	v_lshlrev_b64 v[12:13], 4, v[62:63]
	v_fma_f64 v[36:37], v[40:41], 2.0, v[24:25]
	v_fma_f64 v[34:35], v[44:45], -2.0, v[22:23]
	v_add_co_u32_e32 v12, vcc, v38, v12
	v_addc_co_u32_e32 v13, vcc, v39, v13, vcc
	s_movk_i32 s0, 0x1000
	global_store_dwordx4 v[12:13], v[8:11], off
	global_store_dwordx4 v[12:13], v[22:25], off offset:1232
	global_store_dwordx4 v[12:13], v[18:21], off offset:2464
	;; [unrolled: 1-line block ×3, first 2 shown]
	v_add_co_u32_e32 v8, vcc, s0, v12
	v_addc_co_u32_e32 v9, vcc, 0, v13, vcc
	global_store_dwordx4 v[8:9], v[0:3], off offset:832
	global_store_dwordx4 v[8:9], v[4:7], off offset:2064
	;; [unrolled: 1-line block ×3, first 2 shown]
	v_add_co_u32_e32 v0, vcc, 0x2000, v12
	v_addc_co_u32_e32 v1, vcc, 0, v13, vcc
	global_store_dwordx4 v[0:1], v[30:33], off offset:432
	global_store_dwordx4 v[0:1], v[34:37], off offset:1664
	s_endpgm
	.section	.rodata,"a",@progbits
	.p2align	6, 0x0
	.amdhsa_kernel fft_rtc_fwd_len693_factors_11_7_9_wgs_99_tpt_99_halfLds_dp_ip_CI_unitstride_sbrr_dirReg
		.amdhsa_group_segment_fixed_size 0
		.amdhsa_private_segment_fixed_size 0
		.amdhsa_kernarg_size 88
		.amdhsa_user_sgpr_count 6
		.amdhsa_user_sgpr_private_segment_buffer 1
		.amdhsa_user_sgpr_dispatch_ptr 0
		.amdhsa_user_sgpr_queue_ptr 0
		.amdhsa_user_sgpr_kernarg_segment_ptr 1
		.amdhsa_user_sgpr_dispatch_id 0
		.amdhsa_user_sgpr_flat_scratch_init 0
		.amdhsa_user_sgpr_private_segment_size 0
		.amdhsa_uses_dynamic_stack 0
		.amdhsa_system_sgpr_private_segment_wavefront_offset 0
		.amdhsa_system_sgpr_workgroup_id_x 1
		.amdhsa_system_sgpr_workgroup_id_y 0
		.amdhsa_system_sgpr_workgroup_id_z 0
		.amdhsa_system_sgpr_workgroup_info 0
		.amdhsa_system_vgpr_workitem_id 0
		.amdhsa_next_free_vgpr 124
		.amdhsa_next_free_sgpr 38
		.amdhsa_reserve_vcc 1
		.amdhsa_reserve_flat_scratch 0
		.amdhsa_float_round_mode_32 0
		.amdhsa_float_round_mode_16_64 0
		.amdhsa_float_denorm_mode_32 3
		.amdhsa_float_denorm_mode_16_64 3
		.amdhsa_dx10_clamp 1
		.amdhsa_ieee_mode 1
		.amdhsa_fp16_overflow 0
		.amdhsa_exception_fp_ieee_invalid_op 0
		.amdhsa_exception_fp_denorm_src 0
		.amdhsa_exception_fp_ieee_div_zero 0
		.amdhsa_exception_fp_ieee_overflow 0
		.amdhsa_exception_fp_ieee_underflow 0
		.amdhsa_exception_fp_ieee_inexact 0
		.amdhsa_exception_int_div_zero 0
	.end_amdhsa_kernel
	.text
.Lfunc_end0:
	.size	fft_rtc_fwd_len693_factors_11_7_9_wgs_99_tpt_99_halfLds_dp_ip_CI_unitstride_sbrr_dirReg, .Lfunc_end0-fft_rtc_fwd_len693_factors_11_7_9_wgs_99_tpt_99_halfLds_dp_ip_CI_unitstride_sbrr_dirReg
                                        ; -- End function
	.section	.AMDGPU.csdata,"",@progbits
; Kernel info:
; codeLenInByte = 7308
; NumSgprs: 42
; NumVgprs: 124
; ScratchSize: 0
; MemoryBound: 1
; FloatMode: 240
; IeeeMode: 1
; LDSByteSize: 0 bytes/workgroup (compile time only)
; SGPRBlocks: 5
; VGPRBlocks: 30
; NumSGPRsForWavesPerEU: 42
; NumVGPRsForWavesPerEU: 124
; Occupancy: 2
; WaveLimiterHint : 1
; COMPUTE_PGM_RSRC2:SCRATCH_EN: 0
; COMPUTE_PGM_RSRC2:USER_SGPR: 6
; COMPUTE_PGM_RSRC2:TRAP_HANDLER: 0
; COMPUTE_PGM_RSRC2:TGID_X_EN: 1
; COMPUTE_PGM_RSRC2:TGID_Y_EN: 0
; COMPUTE_PGM_RSRC2:TGID_Z_EN: 0
; COMPUTE_PGM_RSRC2:TIDIG_COMP_CNT: 0
	.type	__hip_cuid_f6a122eb029f6f8b,@object ; @__hip_cuid_f6a122eb029f6f8b
	.section	.bss,"aw",@nobits
	.globl	__hip_cuid_f6a122eb029f6f8b
__hip_cuid_f6a122eb029f6f8b:
	.byte	0                               ; 0x0
	.size	__hip_cuid_f6a122eb029f6f8b, 1

	.ident	"AMD clang version 19.0.0git (https://github.com/RadeonOpenCompute/llvm-project roc-6.4.0 25133 c7fe45cf4b819c5991fe208aaa96edf142730f1d)"
	.section	".note.GNU-stack","",@progbits
	.addrsig
	.addrsig_sym __hip_cuid_f6a122eb029f6f8b
	.amdgpu_metadata
---
amdhsa.kernels:
  - .args:
      - .actual_access:  read_only
        .address_space:  global
        .offset:         0
        .size:           8
        .value_kind:     global_buffer
      - .offset:         8
        .size:           8
        .value_kind:     by_value
      - .actual_access:  read_only
        .address_space:  global
        .offset:         16
        .size:           8
        .value_kind:     global_buffer
      - .actual_access:  read_only
        .address_space:  global
        .offset:         24
        .size:           8
        .value_kind:     global_buffer
      - .offset:         32
        .size:           8
        .value_kind:     by_value
      - .actual_access:  read_only
        .address_space:  global
        .offset:         40
        .size:           8
        .value_kind:     global_buffer
      - .actual_access:  read_only
        .address_space:  global
        .offset:         48
        .size:           8
        .value_kind:     global_buffer
      - .offset:         56
        .size:           4
        .value_kind:     by_value
      - .actual_access:  read_only
        .address_space:  global
        .offset:         64
        .size:           8
        .value_kind:     global_buffer
      - .actual_access:  read_only
        .address_space:  global
        .offset:         72
        .size:           8
        .value_kind:     global_buffer
      - .address_space:  global
        .offset:         80
        .size:           8
        .value_kind:     global_buffer
    .group_segment_fixed_size: 0
    .kernarg_segment_align: 8
    .kernarg_segment_size: 88
    .language:       OpenCL C
    .language_version:
      - 2
      - 0
    .max_flat_workgroup_size: 99
    .name:           fft_rtc_fwd_len693_factors_11_7_9_wgs_99_tpt_99_halfLds_dp_ip_CI_unitstride_sbrr_dirReg
    .private_segment_fixed_size: 0
    .sgpr_count:     42
    .sgpr_spill_count: 0
    .symbol:         fft_rtc_fwd_len693_factors_11_7_9_wgs_99_tpt_99_halfLds_dp_ip_CI_unitstride_sbrr_dirReg.kd
    .uniform_work_group_size: 1
    .uses_dynamic_stack: false
    .vgpr_count:     124
    .vgpr_spill_count: 0
    .wavefront_size: 64
amdhsa.target:   amdgcn-amd-amdhsa--gfx906
amdhsa.version:
  - 1
  - 2
...

	.end_amdgpu_metadata
